;; amdgpu-corpus repo=ROCm/rocFFT kind=compiled arch=gfx950 opt=O3
	.text
	.amdgcn_target "amdgcn-amd-amdhsa--gfx950"
	.amdhsa_code_object_version 6
	.protected	fft_rtc_fwd_len594_factors_11_3_6_3_wgs_99_tpt_99_half_op_CI_CI_unitstride_sbrr_C2R_dirReg ; -- Begin function fft_rtc_fwd_len594_factors_11_3_6_3_wgs_99_tpt_99_half_op_CI_CI_unitstride_sbrr_C2R_dirReg
	.globl	fft_rtc_fwd_len594_factors_11_3_6_3_wgs_99_tpt_99_half_op_CI_CI_unitstride_sbrr_C2R_dirReg
	.p2align	8
	.type	fft_rtc_fwd_len594_factors_11_3_6_3_wgs_99_tpt_99_half_op_CI_CI_unitstride_sbrr_C2R_dirReg,@function
fft_rtc_fwd_len594_factors_11_3_6_3_wgs_99_tpt_99_half_op_CI_CI_unitstride_sbrr_C2R_dirReg: ; @fft_rtc_fwd_len594_factors_11_3_6_3_wgs_99_tpt_99_half_op_CI_CI_unitstride_sbrr_C2R_dirReg
; %bb.0:
	s_load_dwordx4 s[4:7], s[0:1], 0x58
	s_load_dwordx4 s[8:11], s[0:1], 0x0
	;; [unrolled: 1-line block ×3, first 2 shown]
	v_mul_u32_u24_e32 v1, 0x296, v0
	v_add_u32_sdwa v10, s2, v1 dst_sel:DWORD dst_unused:UNUSED_PAD src0_sel:DWORD src1_sel:WORD_1
	v_mov_b32_e32 v6, 0
	s_waitcnt lgkmcnt(0)
	v_cmp_lt_u64_e64 s[2:3], s[10:11], 2
	v_mov_b32_e32 v11, v6
	s_and_b64 vcc, exec, s[2:3]
	v_mov_b64_e32 v[8:9], 0
	s_cbranch_vccnz .LBB0_8
; %bb.1:
	s_load_dwordx2 s[2:3], s[0:1], 0x10
	s_add_u32 s16, s14, 8
	s_addc_u32 s17, s15, 0
	s_add_u32 s18, s12, 8
	s_addc_u32 s19, s13, 0
	s_waitcnt lgkmcnt(0)
	s_add_u32 s20, s2, 8
	v_mov_b64_e32 v[8:9], 0
	s_addc_u32 s21, s3, 0
	s_mov_b64 s[22:23], 1
	v_mov_b64_e32 v[2:3], v[8:9]
.LBB0_2:                                ; =>This Inner Loop Header: Depth=1
	s_load_dwordx2 s[24:25], s[20:21], 0x0
                                        ; implicit-def: $vgpr4_vgpr5
	s_waitcnt lgkmcnt(0)
	v_or_b32_e32 v7, s25, v11
	v_cmp_ne_u64_e32 vcc, 0, v[6:7]
	s_and_saveexec_b64 s[2:3], vcc
	s_xor_b64 s[26:27], exec, s[2:3]
	s_cbranch_execz .LBB0_4
; %bb.3:                                ;   in Loop: Header=BB0_2 Depth=1
	v_cvt_f32_u32_e32 v1, s24
	v_cvt_f32_u32_e32 v4, s25
	s_sub_u32 s2, 0, s24
	s_subb_u32 s3, 0, s25
	v_fmac_f32_e32 v1, 0x4f800000, v4
	v_rcp_f32_e32 v1, v1
	s_nop 0
	v_mul_f32_e32 v1, 0x5f7ffffc, v1
	v_mul_f32_e32 v4, 0x2f800000, v1
	v_trunc_f32_e32 v4, v4
	v_fmac_f32_e32 v1, 0xcf800000, v4
	v_cvt_u32_f32_e32 v7, v4
	v_cvt_u32_f32_e32 v1, v1
	v_mul_lo_u32 v4, s2, v7
	v_mul_hi_u32 v12, s2, v1
	v_mul_lo_u32 v5, s3, v1
	v_add_u32_e32 v12, v12, v4
	v_mul_lo_u32 v14, s2, v1
	v_add_u32_e32 v15, v12, v5
	v_mul_hi_u32 v4, v1, v14
	v_mul_hi_u32 v13, v1, v15
	v_mul_lo_u32 v12, v1, v15
	v_mov_b32_e32 v5, v6
	v_lshl_add_u64 v[4:5], v[4:5], 0, v[12:13]
	v_mul_hi_u32 v13, v7, v14
	v_mul_lo_u32 v14, v7, v14
	v_add_co_u32_e32 v4, vcc, v4, v14
	v_mul_hi_u32 v12, v7, v15
	s_nop 0
	v_addc_co_u32_e32 v4, vcc, v5, v13, vcc
	v_mov_b32_e32 v5, v6
	s_nop 0
	v_addc_co_u32_e32 v13, vcc, 0, v12, vcc
	v_mul_lo_u32 v12, v7, v15
	v_lshl_add_u64 v[4:5], v[4:5], 0, v[12:13]
	v_add_co_u32_e32 v1, vcc, v1, v4
	v_mul_lo_u32 v12, s2, v1
	s_nop 0
	v_addc_co_u32_e32 v7, vcc, v7, v5, vcc
	v_mul_lo_u32 v4, s2, v7
	v_mul_hi_u32 v5, s2, v1
	v_add_u32_e32 v4, v5, v4
	v_mul_lo_u32 v5, s3, v1
	v_add_u32_e32 v14, v4, v5
	v_mul_hi_u32 v16, v7, v12
	v_mul_lo_u32 v17, v7, v12
	v_mul_hi_u32 v5, v1, v14
	v_mul_lo_u32 v4, v1, v14
	v_mul_hi_u32 v12, v1, v12
	v_mov_b32_e32 v13, v6
	v_lshl_add_u64 v[4:5], v[12:13], 0, v[4:5]
	v_add_co_u32_e32 v4, vcc, v4, v17
	v_mul_hi_u32 v15, v7, v14
	s_nop 0
	v_addc_co_u32_e32 v4, vcc, v5, v16, vcc
	v_mul_lo_u32 v12, v7, v14
	s_nop 0
	v_addc_co_u32_e32 v13, vcc, 0, v15, vcc
	v_mov_b32_e32 v5, v6
	v_lshl_add_u64 v[4:5], v[4:5], 0, v[12:13]
	v_add_co_u32_e32 v1, vcc, v1, v4
	v_mul_hi_u32 v12, v10, v1
	s_nop 0
	v_addc_co_u32_e32 v7, vcc, v7, v5, vcc
	v_mad_u64_u32 v[4:5], s[2:3], v10, v7, 0
	v_mov_b32_e32 v13, v6
	v_lshl_add_u64 v[4:5], v[12:13], 0, v[4:5]
	v_mad_u64_u32 v[14:15], s[2:3], v11, v1, 0
	v_add_co_u32_e32 v1, vcc, v4, v14
	v_mad_u64_u32 v[12:13], s[2:3], v11, v7, 0
	s_nop 0
	v_addc_co_u32_e32 v4, vcc, v5, v15, vcc
	v_mov_b32_e32 v5, v6
	s_nop 0
	v_addc_co_u32_e32 v13, vcc, 0, v13, vcc
	v_lshl_add_u64 v[4:5], v[4:5], 0, v[12:13]
	v_mul_lo_u32 v1, s25, v4
	v_mul_lo_u32 v7, s24, v5
	v_mad_u64_u32 v[12:13], s[2:3], s24, v4, 0
	v_add3_u32 v1, v13, v7, v1
	v_sub_u32_e32 v7, v11, v1
	v_mov_b32_e32 v13, s25
	v_sub_co_u32_e32 v16, vcc, v10, v12
	v_lshl_add_u64 v[14:15], v[4:5], 0, 1
	s_nop 0
	v_subb_co_u32_e64 v7, s[2:3], v7, v13, vcc
	v_subrev_co_u32_e64 v12, s[2:3], s24, v16
	v_subb_co_u32_e32 v1, vcc, v11, v1, vcc
	s_nop 0
	v_subbrev_co_u32_e64 v7, s[2:3], 0, v7, s[2:3]
	v_cmp_le_u32_e64 s[2:3], s25, v7
	v_cmp_le_u32_e32 vcc, s25, v1
	s_nop 0
	v_cndmask_b32_e64 v13, 0, -1, s[2:3]
	v_cmp_le_u32_e64 s[2:3], s24, v12
	s_nop 1
	v_cndmask_b32_e64 v12, 0, -1, s[2:3]
	v_cmp_eq_u32_e64 s[2:3], s25, v7
	s_nop 1
	v_cndmask_b32_e64 v7, v13, v12, s[2:3]
	v_lshl_add_u64 v[12:13], v[4:5], 0, 2
	v_cmp_ne_u32_e64 s[2:3], 0, v7
	s_nop 1
	v_cndmask_b32_e64 v7, v15, v13, s[2:3]
	v_cndmask_b32_e64 v13, 0, -1, vcc
	v_cmp_le_u32_e32 vcc, s24, v16
	s_nop 1
	v_cndmask_b32_e64 v15, 0, -1, vcc
	v_cmp_eq_u32_e32 vcc, s25, v1
	s_nop 1
	v_cndmask_b32_e32 v1, v13, v15, vcc
	v_cmp_ne_u32_e32 vcc, 0, v1
	v_cndmask_b32_e64 v1, v14, v12, s[2:3]
	s_nop 0
	v_cndmask_b32_e32 v5, v5, v7, vcc
	v_cndmask_b32_e32 v4, v4, v1, vcc
.LBB0_4:                                ;   in Loop: Header=BB0_2 Depth=1
	s_andn2_saveexec_b64 s[2:3], s[26:27]
	s_cbranch_execz .LBB0_6
; %bb.5:                                ;   in Loop: Header=BB0_2 Depth=1
	v_cvt_f32_u32_e32 v1, s24
	s_sub_i32 s26, 0, s24
	v_rcp_iflag_f32_e32 v1, v1
	s_nop 0
	v_mul_f32_e32 v1, 0x4f7ffffe, v1
	v_cvt_u32_f32_e32 v1, v1
	v_mul_lo_u32 v4, s26, v1
	v_mul_hi_u32 v4, v1, v4
	v_add_u32_e32 v1, v1, v4
	v_mul_hi_u32 v1, v10, v1
	v_mul_lo_u32 v4, v1, s24
	v_sub_u32_e32 v4, v10, v4
	v_add_u32_e32 v5, 1, v1
	v_subrev_u32_e32 v7, s24, v4
	v_cmp_le_u32_e32 vcc, s24, v4
	s_nop 1
	v_cndmask_b32_e32 v4, v4, v7, vcc
	v_cndmask_b32_e32 v1, v1, v5, vcc
	v_add_u32_e32 v5, 1, v1
	v_cmp_le_u32_e32 vcc, s24, v4
	s_nop 1
	v_cndmask_b32_e32 v4, v1, v5, vcc
	v_mov_b32_e32 v5, v6
.LBB0_6:                                ;   in Loop: Header=BB0_2 Depth=1
	s_or_b64 exec, exec, s[2:3]
	v_mad_u64_u32 v[12:13], s[2:3], v4, s24, 0
	s_load_dwordx2 s[2:3], s[18:19], 0x0
	v_mul_lo_u32 v1, v5, s24
	v_mul_lo_u32 v7, v4, s25
	s_load_dwordx2 s[24:25], s[16:17], 0x0
	s_add_u32 s22, s22, 1
	v_add3_u32 v1, v13, v7, v1
	v_sub_co_u32_e32 v7, vcc, v10, v12
	s_addc_u32 s23, s23, 0
	s_nop 0
	v_subb_co_u32_e32 v1, vcc, v11, v1, vcc
	s_add_u32 s16, s16, 8
	s_waitcnt lgkmcnt(0)
	v_mul_lo_u32 v10, s2, v1
	v_mul_lo_u32 v11, s3, v7
	v_mad_u64_u32 v[8:9], s[2:3], s2, v7, v[8:9]
	s_addc_u32 s17, s17, 0
	v_add3_u32 v9, v11, v9, v10
	v_mul_lo_u32 v1, s24, v1
	v_mul_lo_u32 v10, s25, v7
	v_mad_u64_u32 v[2:3], s[2:3], s24, v7, v[2:3]
	s_add_u32 s18, s18, 8
	v_add3_u32 v3, v10, v3, v1
	s_addc_u32 s19, s19, 0
	v_mov_b64_e32 v[10:11], s[10:11]
	s_add_u32 s20, s20, 8
	v_cmp_ge_u64_e32 vcc, s[22:23], v[10:11]
	s_addc_u32 s21, s21, 0
	s_cbranch_vccnz .LBB0_9
; %bb.7:                                ;   in Loop: Header=BB0_2 Depth=1
	v_mov_b64_e32 v[10:11], v[4:5]
	s_branch .LBB0_2
.LBB0_8:
	v_mov_b64_e32 v[2:3], v[8:9]
	v_mov_b64_e32 v[4:5], v[10:11]
.LBB0_9:
	s_load_dwordx2 s[0:1], s[0:1], 0x28
	s_lshl_b64 s[16:17], s[10:11], 3
	s_add_u32 s2, s14, s16
	s_addc_u32 s3, s15, s17
                                        ; implicit-def: $vgpr6
	s_waitcnt lgkmcnt(0)
	v_cmp_gt_u64_e32 vcc, s[0:1], v[4:5]
	v_cmp_le_u64_e64 s[0:1], s[0:1], v[4:5]
	s_and_saveexec_b64 s[10:11], s[0:1]
	s_xor_b64 s[0:1], exec, s[10:11]
; %bb.10:
	s_mov_b32 s10, 0x295fad5
	v_mul_hi_u32 v1, v0, s10
	v_mul_u32_u24_e32 v1, 0x63, v1
	v_sub_u32_e32 v6, v0, v1
                                        ; implicit-def: $vgpr0
                                        ; implicit-def: $vgpr8_vgpr9
; %bb.11:
	s_or_saveexec_b64 s[10:11], s[0:1]
	s_load_dwordx2 s[2:3], s[2:3], 0x0
	s_xor_b64 exec, exec, s[10:11]
	s_cbranch_execz .LBB0_15
; %bb.12:
	s_add_u32 s0, s12, s16
	s_addc_u32 s1, s13, s17
	s_load_dwordx2 s[0:1], s[0:1], 0x0
	s_mov_b32 s12, 0x295fad5
	s_waitcnt lgkmcnt(0)
	v_mul_lo_u32 v1, s1, v4
	v_mul_lo_u32 v6, s0, v5
	v_mad_u64_u32 v[10:11], s[0:1], s0, v4, 0
	v_add3_u32 v11, v11, v6, v1
	v_mul_hi_u32 v1, v0, s12
	v_mul_u32_u24_e32 v1, 0x63, v1
	v_sub_u32_e32 v6, v0, v1
	v_lshl_add_u64 v[0:1], v[10:11], 2, s[4:5]
	v_lshl_add_u64 v[0:1], v[8:9], 2, v[0:1]
	v_lshlrev_b32_e32 v8, 2, v6
	v_mov_b32_e32 v9, 0
	v_lshl_add_u64 v[10:11], v[0:1], 0, v[8:9]
	global_load_dword v7, v[10:11], off
	global_load_dword v12, v[10:11], off offset:396
	global_load_dword v13, v[10:11], off offset:792
	;; [unrolled: 1-line block ×5, first 2 shown]
	s_movk_i32 s0, 0x62
	v_add_u32_e32 v8, 0, v8
	v_cmp_eq_u32_e64 s[0:1], s0, v6
	v_add_u32_e32 v10, 0x200, v8
	v_add_u32_e32 v11, 0x400, v8
	s_waitcnt vmcnt(4)
	ds_write2_b32 v8, v7, v12 offset1:99
	s_waitcnt vmcnt(2)
	ds_write2_b32 v10, v13, v14 offset0:70 offset1:169
	s_waitcnt vmcnt(0)
	ds_write2_b32 v11, v15, v16 offset0:140 offset1:239
	s_and_saveexec_b64 s[4:5], s[0:1]
	s_cbranch_execz .LBB0_14
; %bb.13:
	global_load_dword v0, v[0:1], off offset:2376
	v_mov_b32_e32 v6, 0x62
	s_waitcnt vmcnt(0)
	ds_write_b32 v9, v0 offset:2376
.LBB0_14:
	s_or_b64 exec, exec, s[4:5]
.LBB0_15:
	s_or_b64 exec, exec, s[10:11]
	v_lshlrev_b32_e32 v0, 2, v6
	v_add_u32_e32 v16, 0, v0
	s_waitcnt lgkmcnt(0)
	s_barrier
	v_sub_u32_e32 v8, 0, v0
	ds_read_u16 v0, v16
	ds_read_u16 v1, v8 offset:2376
	v_cmp_ne_u32_e64 s[0:1], 0, v6
	s_waitcnt lgkmcnt(0)
	v_add_f16_e32 v10, v1, v0
	v_sub_f16_e32 v9, v0, v1
                                        ; implicit-def: $vgpr0_vgpr1
	s_and_saveexec_b64 s[4:5], s[0:1]
	s_xor_b64 s[0:1], exec, s[4:5]
	s_cbranch_execz .LBB0_17
; %bb.16:
	v_mov_b32_e32 v7, 0
	v_lshl_add_u64 v[0:1], v[6:7], 2, s[8:9]
	global_load_dword v0, v[0:1], off offset:2332
	ds_read_u16 v1, v8 offset:2378
	ds_read_u16 v11, v16 offset:2
	s_waitcnt lgkmcnt(0)
	v_add_f16_e32 v12, v1, v11
	v_sub_f16_e32 v1, v11, v1
	s_waitcnt vmcnt(0)
	v_lshrrev_b32_e32 v11, 16, v0
	v_fma_f16 v13, v9, v11, v10
	v_fma_f16 v14, v12, v11, v1
	v_fma_f16 v10, -v9, v11, v10
	v_fma_f16 v1, v12, v11, -v1
	v_fma_f16 v11, -v0, v12, v13
	v_fma_f16 v13, v9, v0, v14
	v_fma_f16 v10, v0, v12, v10
	;; [unrolled: 1-line block ×3, first 2 shown]
	v_pack_b32_f16 v1, v11, v13
	v_pack_b32_f16 v0, v10, v0
	ds_write_b32 v16, v1
	ds_write_b32 v8, v0 offset:2376
	v_mov_b64_e32 v[0:1], v[6:7]
                                        ; implicit-def: $vgpr10
                                        ; implicit-def: $vgpr9
.LBB0_17:
	s_andn2_saveexec_b64 s[0:1], s[0:1]
	s_cbranch_execz .LBB0_19
; %bb.18:
	v_pack_b32_f16 v0, v10, v9
	ds_write_b32 v16, v0
	v_mov_b32_e32 v0, 0
	ds_read_b32 v1, v0 offset:1188
	s_mov_b32 s4, 0xc0004000
	s_waitcnt lgkmcnt(0)
	v_pk_mul_f16 v1, v1, s4
	ds_write_b32 v0, v1 offset:1188
	v_mov_b64_e32 v[0:1], 0
.LBB0_19:
	s_or_b64 exec, exec, s[0:1]
	s_add_u32 s0, s8, 0x91c
	s_addc_u32 s1, s9, 0
	v_lshl_add_u64 v[0:1], v[0:1], 2, s[0:1]
	global_load_dword v7, v[0:1], off offset:396
	global_load_dword v9, v[0:1], off offset:792
	ds_read_b32 v0, v16 offset:396
	ds_read_b32 v1, v8 offset:1980
	v_add_u32_e32 v17, 0x400, v16
	v_cmp_gt_u32_e64 s[0:1], 54, v6
	s_waitcnt lgkmcnt(0)
	v_add_f16_e32 v10, v0, v1
	v_add_f16_sdwa v11, v1, v0 dst_sel:DWORD dst_unused:UNUSED_PAD src0_sel:WORD_1 src1_sel:WORD_1
	v_sub_f16_e32 v12, v0, v1
	v_sub_f16_sdwa v0, v0, v1 dst_sel:DWORD dst_unused:UNUSED_PAD src0_sel:WORD_1 src1_sel:WORD_1
	s_waitcnt vmcnt(1)
	v_lshrrev_b32_e32 v1, 16, v7
	v_fma_f16 v13, v12, v1, v10
	v_fma_f16 v14, v11, v1, v0
	v_fma_f16 v10, -v12, v1, v10
	v_fma_f16 v0, v11, v1, -v0
	v_fma_f16 v1, -v7, v11, v13
	v_fma_f16 v13, v12, v7, v14
	v_fma_f16 v10, v7, v11, v10
	v_fma_f16 v0, v12, v7, v0
	v_pack_b32_f16 v1, v1, v13
	v_pack_b32_f16 v0, v10, v0
	ds_write_b32 v16, v1 offset:396
	ds_write_b32 v8, v0 offset:1980
	ds_read_b32 v0, v16 offset:792
	ds_read_b32 v1, v8 offset:1584
	s_waitcnt vmcnt(0)
	v_lshrrev_b32_e32 v10, 16, v9
	v_add_u32_e32 v7, 0x200, v16
	s_waitcnt lgkmcnt(0)
	v_add_f16_e32 v11, v0, v1
	v_add_f16_sdwa v12, v1, v0 dst_sel:DWORD dst_unused:UNUSED_PAD src0_sel:WORD_1 src1_sel:WORD_1
	v_sub_f16_e32 v13, v0, v1
	v_sub_f16_sdwa v0, v0, v1 dst_sel:DWORD dst_unused:UNUSED_PAD src0_sel:WORD_1 src1_sel:WORD_1
	v_fma_f16 v1, v13, v10, v11
	v_fma_f16 v14, v12, v10, v0
	v_fma_f16 v11, -v13, v10, v11
	v_fma_f16 v0, v12, v10, -v0
	v_fma_f16 v1, -v9, v12, v1
	v_fma_f16 v10, v13, v9, v14
	v_fma_f16 v11, v9, v12, v11
	;; [unrolled: 1-line block ×3, first 2 shown]
	v_pack_b32_f16 v1, v1, v10
	v_pack_b32_f16 v0, v11, v0
	ds_write_b32 v16, v1 offset:792
	ds_write_b32 v8, v0 offset:1584
	s_waitcnt lgkmcnt(0)
	s_barrier
	s_barrier
	ds_read2_b32 v[0:1], v16 offset1:54
	ds_read2_b32 v[14:15], v16 offset0:108 offset1:162
	ds_read2_b32 v[12:13], v7 offset0:88 offset1:142
	;; [unrolled: 1-line block ×4, first 2 shown]
	ds_read_b32 v18, v16 offset:2160
	s_waitcnt lgkmcnt(0)
	s_barrier
	s_and_saveexec_b64 s[4:5], s[0:1]
	s_cbranch_execz .LBB0_21
; %bb.20:
	v_sub_f16_e32 v19, v1, v18
	v_mul_f16_e32 v20, 0xb482, v19
	v_add_f16_sdwa v21, v18, v1 dst_sel:DWORD dst_unused:UNUSED_PAD src0_sel:WORD_1 src1_sel:WORD_1
	s_mov_b32 s0, 0xbbad
	v_sub_f16_e32 v23, v14, v9
	v_fma_f16 v22, v21, s0, v20
	v_mul_f16_e32 v24, 0x3853, v23
	v_add_f16_sdwa v25, v9, v14 dst_sel:DWORD dst_unused:UNUSED_PAD src0_sel:WORD_1 src1_sel:WORD_1
	s_movk_i32 s1, 0x3abb
	v_add_f16_sdwa v22, v0, v22 dst_sel:DWORD dst_unused:UNUSED_PAD src0_sel:WORD_1 src1_sel:DWORD
	v_fma_f16 v26, v25, s1, v24
	v_add_f16_e32 v22, v26, v22
	v_sub_f16_e32 v26, v15, v8
	v_mul_f16_e32 v27, 0xba0c, v26
	v_add_f16_sdwa v28, v8, v15 dst_sel:DWORD dst_unused:UNUSED_PAD src0_sel:WORD_1 src1_sel:WORD_1
	s_mov_b32 s10, 0xb93d
	v_fma_f16 v29, v28, s10, v27
	v_add_f16_e32 v22, v29, v22
	v_sub_f16_e32 v29, v12, v11
	v_mul_f16_e32 v30, 0x3b47, v29
	v_add_f16_sdwa v31, v11, v12 dst_sel:DWORD dst_unused:UNUSED_PAD src0_sel:WORD_1 src1_sel:WORD_1
	s_movk_i32 s11, 0x36a6
	v_fma_f16 v32, v31, s11, v30
	v_add_f16_e32 v22, v32, v22
	v_sub_f16_e32 v32, v13, v10
	v_mul_f16_e32 v33, 0xbbeb, v32
	v_add_f16_sdwa v34, v10, v13 dst_sel:DWORD dst_unused:UNUSED_PAD src0_sel:WORD_1 src1_sel:WORD_1
	s_mov_b32 s12, 0xb08e
	v_fma_f16 v35, v34, s12, v33
	v_sub_f16_sdwa v36, v1, v18 dst_sel:DWORD dst_unused:UNUSED_PAD src0_sel:WORD_1 src1_sel:WORD_1
	v_add_f16_e32 v22, v35, v22
	v_add_f16_e32 v35, v18, v1
	v_mul_f16_e32 v37, 0xb482, v36
	v_sub_f16_sdwa v40, v14, v9 dst_sel:DWORD dst_unused:UNUSED_PAD src0_sel:WORD_1 src1_sel:WORD_1
	v_fma_f16 v38, v35, s0, -v37
	v_add_f16_e32 v39, v9, v14
	v_mul_f16_e32 v41, 0x3853, v40
	v_add_f16_e32 v38, v0, v38
	v_fma_f16 v42, v39, s1, -v41
	v_sub_f16_sdwa v43, v15, v8 dst_sel:DWORD dst_unused:UNUSED_PAD src0_sel:WORD_1 src1_sel:WORD_1
	v_add_f16_e32 v38, v42, v38
	v_add_f16_e32 v42, v8, v15
	v_mul_f16_e32 v44, 0xba0c, v43
	v_fma_f16 v45, v42, s10, -v44
	v_sub_f16_sdwa v46, v12, v11 dst_sel:DWORD dst_unused:UNUSED_PAD src0_sel:WORD_1 src1_sel:WORD_1
	v_add_f16_e32 v38, v45, v38
	v_add_f16_e32 v45, v11, v12
	v_mul_f16_e32 v47, 0x3b47, v46
	;; [unrolled: 5-line block ×3, first 2 shown]
	v_fma_f16 v51, v48, s12, -v50
	v_add_f16_e32 v38, v51, v38
	v_mul_f16_e32 v51, 0xba0c, v19
	v_fma_f16 v52, v21, s10, v51
	v_mul_f16_e32 v53, 0x3beb, v23
	v_add_f16_sdwa v52, v0, v52 dst_sel:DWORD dst_unused:UNUSED_PAD src0_sel:WORD_1 src1_sel:DWORD
	v_fma_f16 v54, v25, s12, v53
	v_add_f16_e32 v52, v54, v52
	v_mul_f16_e32 v54, 0xb853, v26
	v_fma_f16 v55, v28, s1, v54
	v_add_f16_e32 v52, v55, v52
	v_mul_f16_e32 v55, 0xb482, v29
	;; [unrolled: 3-line block ×4, first 2 shown]
	v_fma_f16 v58, v35, s10, -v57
	v_mul_f16_e32 v59, 0x3beb, v40
	v_add_f16_e32 v58, v0, v58
	v_fma_f16 v60, v39, s12, -v59
	v_add_f16_e32 v58, v60, v58
	v_mul_f16_e32 v60, 0xb853, v43
	v_fma_f16 v61, v42, s1, -v60
	v_add_f16_e32 v58, v61, v58
	v_mul_f16_e32 v61, 0xb482, v46
	;; [unrolled: 3-line block ×3, first 2 shown]
	v_fma_f16 v63, v48, s11, -v62
	v_add_f16_e32 v58, v63, v58
	v_add_f16_e32 v63, v0, v1
	v_add_f16_sdwa v1, v0, v1 dst_sel:DWORD dst_unused:UNUSED_PAD src0_sel:WORD_1 src1_sel:WORD_1
	v_add_f16_e32 v63, v63, v14
	v_add_f16_sdwa v1, v1, v14 dst_sel:DWORD dst_unused:UNUSED_PAD src0_sel:DWORD src1_sel:WORD_1
	v_add_f16_e32 v63, v63, v15
	v_add_f16_sdwa v1, v1, v15 dst_sel:DWORD dst_unused:UNUSED_PAD src0_sel:DWORD src1_sel:WORD_1
	v_mul_f16_e32 v14, 0xbbeb, v19
	v_fma_f16 v15, v21, s12, v14
	v_add_f16_e32 v63, v63, v12
	v_add_f16_sdwa v1, v1, v12 dst_sel:DWORD dst_unused:UNUSED_PAD src0_sel:DWORD src1_sel:WORD_1
	v_mul_f16_e32 v12, 0x3482, v23
	v_add_f16_sdwa v15, v0, v15 dst_sel:DWORD dst_unused:UNUSED_PAD src0_sel:WORD_1 src1_sel:DWORD
	v_add_f16_e32 v63, v63, v13
	v_add_f16_sdwa v1, v1, v13 dst_sel:DWORD dst_unused:UNUSED_PAD src0_sel:DWORD src1_sel:WORD_1
	v_fma_f16 v13, v25, s0, v12
	v_add_f16_e32 v13, v13, v15
	v_mul_f16_e32 v15, 0x3b47, v26
	v_fma_f16 v64, v28, s11, v15
	v_add_f16_e32 v63, v63, v10
	v_add_f16_sdwa v1, v1, v10 dst_sel:DWORD dst_unused:UNUSED_PAD src0_sel:DWORD src1_sel:WORD_1
	v_mul_f16_e32 v10, 0xb853, v29
	v_add_f16_e32 v13, v64, v13
	v_add_f16_e32 v63, v63, v11
	v_add_f16_sdwa v1, v1, v11 dst_sel:DWORD dst_unused:UNUSED_PAD src0_sel:DWORD src1_sel:WORD_1
	v_fma_f16 v11, v31, s1, v10
	v_add_f16_e32 v11, v11, v13
	v_mul_f16_e32 v13, 0xba0c, v32
	v_fma_f16 v64, v34, s10, v13
	v_add_f16_e32 v63, v63, v8
	v_add_f16_sdwa v1, v1, v8 dst_sel:DWORD dst_unused:UNUSED_PAD src0_sel:DWORD src1_sel:WORD_1
	v_mul_f16_e32 v8, 0xbbeb, v36
	v_add_f16_e32 v11, v64, v11
	v_add_f16_e32 v63, v63, v9
	v_add_f16_sdwa v1, v1, v9 dst_sel:DWORD dst_unused:UNUSED_PAD src0_sel:DWORD src1_sel:WORD_1
	v_fma_f16 v9, v35, s12, -v8
	v_mul_f16_e32 v64, 0x3482, v40
	v_add_f16_e32 v9, v0, v9
	v_fma_f16 v65, v39, s0, -v64
	v_add_f16_e32 v9, v65, v9
	v_mul_f16_e32 v65, 0x3b47, v43
	v_fma_f16 v66, v42, s11, -v65
	v_add_f16_e32 v9, v66, v9
	v_mul_f16_e32 v66, 0xb853, v46
	;; [unrolled: 3-line block ×4, first 2 shown]
	v_fma_f16 v14, v21, s12, -v14
	v_fma_f16 v69, v21, s11, v68
	v_mul_f16_e32 v70, 0xba0c, v23
	v_add_f16_sdwa v14, v0, v14 dst_sel:DWORD dst_unused:UNUSED_PAD src0_sel:WORD_1 src1_sel:DWORD
	v_fma_f16 v12, v25, s0, -v12
	v_add_f16_sdwa v69, v0, v69 dst_sel:DWORD dst_unused:UNUSED_PAD src0_sel:WORD_1 src1_sel:DWORD
	v_fma_f16 v71, v25, s10, v70
	v_add_f16_e32 v12, v12, v14
	v_fma_f16 v14, v28, s11, -v15
	v_add_f16_e32 v69, v71, v69
	v_mul_f16_e32 v71, 0x3482, v26
	v_add_f16_e32 v12, v14, v12
	v_fma_f16 v10, v31, s1, -v10
	v_fma_f16 v72, v28, s0, v71
	v_add_f16_e32 v10, v10, v12
	v_fma_f16 v12, v34, s10, -v13
	v_fma_f16 v8, v35, s12, v8
	v_add_f16_e32 v69, v72, v69
	v_mul_f16_e32 v72, 0x3beb, v29
	v_add_f16_e32 v10, v12, v10
	v_add_f16_e32 v8, v0, v8
	v_fma_f16 v12, v39, s0, v64
	v_fma_f16 v73, v31, s12, v72
	v_add_f16_e32 v8, v12, v8
	v_fma_f16 v12, v42, s11, v65
	v_add_f16_e32 v69, v73, v69
	v_mul_f16_e32 v73, 0x3853, v32
	v_add_f16_e32 v8, v12, v8
	v_fma_f16 v12, v45, s1, v66
	v_fma_f16 v74, v34, s1, v73
	v_add_f16_e32 v8, v12, v8
	v_fma_f16 v12, v48, s10, v67
	v_add_f16_e32 v69, v74, v69
	v_mul_f16_e32 v74, 0xbb47, v36
	v_add_f16_e32 v63, v63, v18
	v_add_f16_sdwa v1, v1, v18 dst_sel:DWORD dst_unused:UNUSED_PAD src0_sel:DWORD src1_sel:WORD_1
	v_fma_f16 v18, v21, s0, -v20
	v_add_f16_e32 v8, v12, v8
	v_fma_f16 v12, v21, s11, -v68
	v_fma_f16 v75, v35, s11, -v74
	v_mul_f16_e32 v76, 0xba0c, v40
	v_add_f16_sdwa v18, v0, v18 dst_sel:DWORD dst_unused:UNUSED_PAD src0_sel:WORD_1 src1_sel:DWORD
	v_fma_f16 v20, v25, s1, -v24
	v_add_f16_sdwa v12, v0, v12 dst_sel:DWORD dst_unused:UNUSED_PAD src0_sel:WORD_1 src1_sel:DWORD
	v_fma_f16 v13, v25, s10, -v70
	v_add_f16_e32 v75, v0, v75
	v_fma_f16 v77, v39, s10, -v76
	v_add_f16_e32 v18, v20, v18
	;; [unrolled: 2-line block ×4, first 2 shown]
	v_mul_f16_e32 v77, 0x3482, v43
	v_add_f16_e32 v18, v20, v18
	v_fma_f16 v20, v31, s11, -v30
	v_add_f16_e32 v12, v13, v12
	v_fma_f16 v13, v31, s12, -v72
	v_fma_f16 v78, v42, s0, -v77
	v_add_f16_e32 v18, v20, v18
	v_fma_f16 v20, v34, s12, -v33
	v_add_f16_e32 v12, v13, v12
	;; [unrolled: 2-line block ×3, first 2 shown]
	v_mul_f16_e32 v78, 0x3beb, v46
	v_add_f16_e32 v18, v20, v18
	v_fma_f16 v20, v35, s0, v37
	v_add_f16_e32 v12, v13, v12
	v_fma_f16 v13, v35, s11, v74
	v_fma_f16 v79, v45, s12, -v78
	v_add_f16_e32 v20, v0, v20
	v_fma_f16 v24, v39, s1, v41
	v_add_f16_e32 v13, v0, v13
	v_fma_f16 v14, v39, s10, v76
	v_add_f16_e32 v75, v79, v75
	v_mul_f16_e32 v79, 0x3853, v49
	v_add_f16_e32 v20, v24, v20
	v_fma_f16 v24, v42, s10, v44
	v_add_f16_e32 v13, v14, v13
	v_fma_f16 v14, v42, s0, v77
	v_fma_f16 v80, v48, s1, -v79
	v_mul_f16_e32 v19, 0xb853, v19
	v_add_f16_e32 v20, v24, v20
	v_fma_f16 v24, v45, s11, v47
	v_add_f16_e32 v13, v14, v13
	v_fma_f16 v14, v45, s12, v78
	;; [unrolled: 2-line block ×3, first 2 shown]
	v_mul_f16_e32 v23, 0xbb47, v23
	v_add_f16_e32 v20, v24, v20
	v_fma_f16 v24, v48, s12, v50
	v_add_f16_e32 v13, v14, v13
	v_fma_f16 v14, v48, s1, v79
	v_add_f16_sdwa v80, v0, v80 dst_sel:DWORD dst_unused:UNUSED_PAD src0_sel:WORD_1 src1_sel:DWORD
	v_fma_f16 v81, v25, s11, v23
	v_mul_f16_e32 v26, 0xbbeb, v26
	v_add_f16_e32 v20, v24, v20
	v_fma_f16 v24, v21, s10, -v51
	v_add_f16_e32 v13, v14, v13
	v_fma_f16 v14, v21, s1, -v19
	v_add_f16_e32 v80, v81, v80
	v_fma_f16 v81, v28, s12, v26
	v_mul_f16_e32 v29, 0xba0c, v29
	v_add_f16_sdwa v24, v0, v24 dst_sel:DWORD dst_unused:UNUSED_PAD src0_sel:WORD_1 src1_sel:DWORD
	v_fma_f16 v27, v25, s12, -v53
	v_add_f16_sdwa v14, v0, v14 dst_sel:DWORD dst_unused:UNUSED_PAD src0_sel:WORD_1 src1_sel:DWORD
	v_fma_f16 v15, v25, s11, -v23
	v_add_f16_e32 v80, v81, v80
	v_fma_f16 v81, v31, s10, v29
	v_mul_f16_e32 v32, 0xb482, v32
	v_add_f16_e32 v24, v27, v24
	v_fma_f16 v27, v28, s1, -v54
	v_add_f16_e32 v14, v15, v14
	v_fma_f16 v15, v28, s12, -v26
	v_add_f16_e32 v80, v81, v80
	v_fma_f16 v81, v34, s0, v32
	v_mul_f16_e32 v36, 0xb853, v36
	v_add_f16_e32 v24, v27, v24
	v_fma_f16 v27, v31, s0, -v55
	v_add_f16_e32 v14, v15, v14
	v_fma_f16 v15, v31, s10, -v29
	v_add_f16_e32 v80, v81, v80
	v_fma_f16 v81, v35, s1, -v36
	v_mul_f16_e32 v40, 0xbb47, v40
	v_add_f16_e32 v24, v27, v24
	v_fma_f16 v27, v34, s11, -v56
	v_add_f16_e32 v14, v15, v14
	v_fma_f16 v15, v34, s0, -v32
	;; [unrolled: 2-line block ×3, first 2 shown]
	v_mul_f16_e32 v43, 0xbbeb, v43
	v_add_f16_e32 v24, v27, v24
	v_fma_f16 v27, v35, s10, v57
	v_add_f16_e32 v14, v15, v14
	v_fma_f16 v15, v35, s1, v36
	v_add_f16_e32 v81, v82, v81
	v_fma_f16 v82, v42, s12, -v43
	v_mul_f16_e32 v46, 0xba0c, v46
	v_add_f16_e32 v27, v0, v27
	v_add_f16_e32 v0, v0, v15
	v_fma_f16 v15, v39, s11, v40
	v_add_f16_e32 v81, v82, v81
	v_fma_f16 v82, v45, s10, -v46
	v_mul_f16_e32 v49, 0xb482, v49
	v_add_f16_e32 v0, v15, v0
	v_fma_f16 v15, v42, s12, v43
	v_add_f16_e32 v81, v82, v81
	v_fma_f16 v82, v48, s0, -v49
	v_fma_f16 v30, v39, s12, v59
	v_add_f16_e32 v0, v15, v0
	v_fma_f16 v15, v45, s10, v46
	v_add_f16_e32 v81, v82, v81
	v_add_f16_e32 v27, v30, v27
	v_fma_f16 v30, v42, s1, v60
	v_add_f16_e32 v0, v15, v0
	v_fma_f16 v15, v48, s0, v49
	;; [unrolled: 2-line block ×3, first 2 shown]
	v_add_f16_e32 v0, v15, v0
	v_mad_u32_u24 v15, v6, 40, v16
	v_pack_b32_f16 v19, v81, v80
	v_pack_b32_f16 v1, v63, v1
	v_add_f16_e32 v27, v30, v27
	v_fma_f16 v30, v48, s11, v62
	ds_write2_b32 v15, v1, v19 offset1:1
	v_pack_b32_f16 v1, v9, v11
	v_pack_b32_f16 v9, v75, v69
	v_add_f16_e32 v27, v30, v27
	ds_write2_b32 v15, v9, v1 offset0:2 offset1:3
	v_pack_b32_f16 v1, v38, v22
	v_pack_b32_f16 v9, v58, v52
	ds_write2_b32 v15, v9, v1 offset0:4 offset1:5
	v_pack_b32_f16 v1, v27, v24
	v_pack_b32_f16 v9, v20, v18
	;; [unrolled: 3-line block ×3, first 2 shown]
	v_pack_b32_f16 v0, v0, v14
	ds_write2_b32 v15, v8, v1 offset0:8 offset1:9
	ds_write_b32 v15, v0 offset:40
.LBB0_21:
	s_or_b64 exec, exec, s[4:5]
	s_movk_i32 s0, 0x75
	v_mul_lo_u16_sdwa v0, v6, s0 dst_sel:DWORD dst_unused:UNUSED_PAD src0_sel:BYTE_0 src1_sel:DWORD
	v_sub_u16_sdwa v1, v6, v0 dst_sel:DWORD dst_unused:UNUSED_PAD src0_sel:DWORD src1_sel:BYTE_1
	v_lshrrev_b16_e32 v1, 1, v1
	v_add_u32_e32 v18, 0x63, v6
	v_and_b32_e32 v1, 0x7f, v1
	v_add_u16_sdwa v0, v1, v0 dst_sel:DWORD dst_unused:UNUSED_PAD src0_sel:DWORD src1_sel:BYTE_1
	v_mul_lo_u16_sdwa v1, v18, s0 dst_sel:DWORD dst_unused:UNUSED_PAD src0_sel:BYTE_0 src1_sel:DWORD
	v_sub_u16_sdwa v9, v18, v1 dst_sel:DWORD dst_unused:UNUSED_PAD src0_sel:DWORD src1_sel:BYTE_1
	v_lshrrev_b16_e32 v9, 1, v9
	v_and_b32_e32 v9, 0x7f, v9
	v_lshrrev_b16_e32 v19, 3, v0
	v_add_u16_sdwa v1, v9, v1 dst_sel:DWORD dst_unused:UNUSED_PAD src0_sel:DWORD src1_sel:BYTE_1
	v_mul_lo_u16_e32 v0, 11, v19
	v_lshrrev_b16_e32 v21, 3, v1
	v_sub_u16_e32 v20, v6, v0
	v_mov_b32_e32 v8, 3
	v_mul_lo_u16_e32 v9, 11, v21
	v_lshlrev_b32_sdwa v0, v8, v20 dst_sel:DWORD dst_unused:UNUSED_PAD src0_sel:DWORD src1_sel:BYTE_0
	v_sub_u16_e32 v22, v18, v9
	s_waitcnt lgkmcnt(0)
	s_barrier
	global_load_dwordx2 v[0:1], v0, s[8:9]
	v_lshlrev_b32_sdwa v8, v8, v22 dst_sel:DWORD dst_unused:UNUSED_PAD src0_sel:DWORD src1_sel:BYTE_0
	global_load_dwordx2 v[8:9], v8, s[8:9]
	ds_read2_b32 v[10:11], v16 offset1:99
	ds_read_u16 v23, v16 offset:2
	ds_read2_b32 v[12:13], v7 offset0:70 offset1:169
	ds_read2_b32 v[14:15], v17 offset0:140 offset1:239
	v_mov_b32_e32 v24, 2
	v_mul_u32_u24_e32 v19, 0x84, v19
	v_mul_u32_u24_e32 v21, 0x84, v21
	s_waitcnt lgkmcnt(1)
	v_lshrrev_b32_e32 v26, 16, v12
	s_waitcnt lgkmcnt(0)
	v_lshrrev_b32_e32 v27, 16, v14
	v_lshlrev_b32_sdwa v20, v24, v20 dst_sel:DWORD dst_unused:UNUSED_PAD src0_sel:DWORD src1_sel:BYTE_0
	v_lshlrev_b32_sdwa v22, v24, v22 dst_sel:DWORD dst_unused:UNUSED_PAD src0_sel:DWORD src1_sel:BYTE_0
	v_lshrrev_b32_e32 v28, 16, v13
	v_lshrrev_b32_e32 v29, 16, v15
	v_add3_u32 v19, 0, v19, v20
	v_add3_u32 v20, 0, v21, v22
	v_lshrrev_b32_e32 v25, 16, v11
	s_movk_i32 s0, 0x3aee
	s_mov_b32 s1, 0xbaee
	s_barrier
	s_movk_i32 s4, 0xf9
	s_waitcnt vmcnt(1)
	v_mul_f16_sdwa v21, v0, v26 dst_sel:DWORD dst_unused:UNUSED_PAD src0_sel:WORD_1 src1_sel:DWORD
	v_mul_f16_sdwa v22, v0, v12 dst_sel:DWORD dst_unused:UNUSED_PAD src0_sel:WORD_1 src1_sel:DWORD
	v_mul_f16_sdwa v30, v1, v27 dst_sel:DWORD dst_unused:UNUSED_PAD src0_sel:WORD_1 src1_sel:DWORD
	v_mul_f16_sdwa v31, v1, v14 dst_sel:DWORD dst_unused:UNUSED_PAD src0_sel:WORD_1 src1_sel:DWORD
	s_waitcnt vmcnt(0)
	v_mul_f16_sdwa v32, v8, v28 dst_sel:DWORD dst_unused:UNUSED_PAD src0_sel:WORD_1 src1_sel:DWORD
	v_mul_f16_sdwa v33, v8, v13 dst_sel:DWORD dst_unused:UNUSED_PAD src0_sel:WORD_1 src1_sel:DWORD
	;; [unrolled: 1-line block ×4, first 2 shown]
	v_fma_f16 v12, v0, v12, -v21
	v_fma_f16 v0, v0, v26, v22
	v_fma_f16 v14, v1, v14, -v30
	v_fma_f16 v1, v1, v27, v31
	;; [unrolled: 2-line block ×4, first 2 shown]
	v_add_f16_e32 v22, v12, v14
	v_sub_f16_e32 v26, v0, v1
	v_add_f16_e32 v27, v23, v0
	v_add_f16_e32 v0, v0, v1
	;; [unrolled: 1-line block ×3, first 2 shown]
	v_sub_f16_e32 v12, v12, v14
	v_add_f16_e32 v29, v13, v15
	v_sub_f16_e32 v30, v8, v9
	v_add_f16_e32 v31, v25, v8
	v_add_f16_e32 v8, v8, v9
	v_fma_f16 v10, v22, -0.5, v10
	v_fma_f16 v0, v0, -0.5, v23
	v_add_f16_e32 v28, v11, v13
	v_sub_f16_e32 v13, v13, v15
	v_add_f16_e32 v14, v21, v14
	v_add_f16_e32 v1, v27, v1
	v_fma_f16 v11, v29, -0.5, v11
	v_fma_f16 v8, v8, -0.5, v25
	v_fma_f16 v21, v26, s0, v10
	v_fma_f16 v10, v26, s1, v10
	;; [unrolled: 1-line block ×4, first 2 shown]
	v_add_f16_e32 v15, v28, v15
	v_add_f16_e32 v9, v31, v9
	v_fma_f16 v12, v30, s0, v11
	v_fma_f16 v23, v13, s1, v8
	;; [unrolled: 1-line block ×3, first 2 shown]
	v_pack_b32_f16 v1, v14, v1
	v_pack_b32_f16 v13, v21, v22
	v_pack_b32_f16 v0, v10, v0
	v_fma_f16 v11, v30, s1, v11
	v_pack_b32_f16 v9, v15, v9
	ds_write2_b32 v19, v1, v13 offset1:11
	ds_write_b32 v19, v0 offset:88
	v_pack_b32_f16 v0, v12, v23
	ds_write2_b32 v20, v9, v0 offset1:11
	v_pack_b32_f16 v0, v11, v8
	ds_write_b32 v20, v0 offset:88
	v_mul_lo_u16_sdwa v0, v6, s4 dst_sel:DWORD dst_unused:UNUSED_PAD src0_sel:BYTE_0 src1_sel:DWORD
	v_lshrrev_b16_e32 v19, 13, v0
	v_mul_lo_u16_e32 v0, 33, v19
	v_sub_u16_e32 v20, v6, v0
	v_mov_b32_e32 v0, 5
	v_mul_u32_u24_sdwa v0, v20, v0 dst_sel:DWORD dst_unused:UNUSED_PAD src0_sel:BYTE_0 src1_sel:DWORD
	v_lshlrev_b32_e32 v0, 2, v0
	s_waitcnt lgkmcnt(0)
	s_barrier
	global_load_dwordx4 v[8:11], v0, s[8:9] offset:88
	global_load_dword v21, v0, s[8:9] offset:104
	ds_read2_b32 v[0:1], v16 offset1:99
	ds_read2_b32 v[12:13], v7 offset0:70 offset1:169
	ds_read2_b32 v[14:15], v17 offset0:140 offset1:239
	s_waitcnt lgkmcnt(0)
	s_barrier
	v_lshrrev_b32_e32 v23, 16, v1
	v_lshrrev_b32_e32 v25, 16, v12
	;; [unrolled: 1-line block ×6, first 2 shown]
	s_waitcnt vmcnt(1)
	v_mul_f16_sdwa v29, v8, v23 dst_sel:DWORD dst_unused:UNUSED_PAD src0_sel:WORD_1 src1_sel:DWORD
	v_mul_f16_sdwa v30, v8, v1 dst_sel:DWORD dst_unused:UNUSED_PAD src0_sel:WORD_1 src1_sel:DWORD
	;; [unrolled: 1-line block ×8, first 2 shown]
	s_waitcnt vmcnt(0)
	v_mul_f16_sdwa v37, v21, v28 dst_sel:DWORD dst_unused:UNUSED_PAD src0_sel:WORD_1 src1_sel:DWORD
	v_mul_f16_sdwa v38, v21, v15 dst_sel:DWORD dst_unused:UNUSED_PAD src0_sel:WORD_1 src1_sel:DWORD
	v_fma_f16 v1, v8, v1, -v29
	v_fma_f16 v8, v8, v23, v30
	v_fma_f16 v12, v9, v12, -v31
	v_fma_f16 v9, v9, v25, v32
	;; [unrolled: 2-line block ×5, first 2 shown]
	v_sub_f16_e32 v26, v9, v11
	v_add_f16_e32 v27, v22, v9
	v_add_f16_e32 v9, v9, v11
	;; [unrolled: 1-line block ×3, first 2 shown]
	v_sub_f16_e32 v30, v10, v21
	v_add_f16_e32 v31, v8, v10
	v_add_f16_e32 v10, v10, v21
	;; [unrolled: 1-line block ×4, first 2 shown]
	v_sub_f16_e32 v12, v12, v14
	v_add_f16_e32 v28, v1, v13
	v_sub_f16_e32 v13, v13, v15
	v_fma_f16 v9, v9, -0.5, v22
	v_fma_f16 v1, v29, -0.5, v1
	;; [unrolled: 1-line block ×3, first 2 shown]
	v_add_f16_e32 v14, v23, v14
	v_fma_f16 v0, v25, -0.5, v0
	v_fma_f16 v22, v12, s1, v9
	v_fma_f16 v9, v12, s0, v9
	;; [unrolled: 1-line block ×5, first 2 shown]
	v_add_f16_e32 v15, v28, v15
	v_fma_f16 v10, v26, s0, v0
	v_fma_f16 v0, v26, s1, v0
	;; [unrolled: 1-line block ×3, first 2 shown]
	v_mul_f16_e32 v26, 0x3aee, v23
	v_mul_f16_e32 v28, 0xbaee, v12
	v_mul_f16_e32 v29, -0.5, v8
	v_add_f16_e32 v11, v27, v11
	v_add_f16_e32 v21, v31, v21
	v_mul_f16_e32 v27, -0.5, v1
	v_fma_f16 v12, v12, 0.5, v26
	v_fma_f16 v23, v23, 0.5, v28
	v_fma_f16 v1, v1, s1, v29
	v_add_f16_e32 v13, v14, v15
	v_add_f16_e32 v25, v11, v21
	v_fma_f16 v8, v8, s0, v27
	v_add_f16_e32 v26, v10, v12
	v_add_f16_e32 v28, v22, v23
	;; [unrolled: 1-line block ×3, first 2 shown]
	v_sub_f16_e32 v10, v10, v12
	v_sub_f16_e32 v1, v9, v1
	v_mul_u32_u24_e32 v9, 0x318, v19
	v_lshlrev_b32_sdwa v12, v24, v20 dst_sel:DWORD dst_unused:UNUSED_PAD src0_sel:DWORD src1_sel:BYTE_0
	v_add_f16_e32 v27, v0, v8
	v_sub_f16_e32 v14, v14, v15
	v_sub_f16_e32 v0, v0, v8
	;; [unrolled: 1-line block ×3, first 2 shown]
	v_add3_u32 v9, 0, v9, v12
	v_pack_b32_f16 v12, v13, v25
	v_pack_b32_f16 v13, v26, v28
	v_sub_f16_e32 v11, v22, v23
	ds_write2_b32 v9, v12, v13 offset1:33
	v_pack_b32_f16 v12, v27, v29
	v_pack_b32_f16 v8, v14, v8
	ds_write2_b32 v9, v12, v8 offset0:66 offset1:99
	v_pack_b32_f16 v8, v10, v11
	v_pack_b32_f16 v0, v0, v1
	ds_write2_b32 v9, v8, v0 offset0:132 offset1:165
	v_lshlrev_b32_e32 v0, 1, v6
	v_mov_b32_e32 v1, 0
	v_lshl_add_u64 v[8:9], v[0:1], 2, s[8:9]
	v_lshlrev_b32_e32 v0, 1, v18
	v_lshl_add_u64 v[10:11], v[0:1], 2, s[8:9]
	s_waitcnt lgkmcnt(0)
	s_barrier
	global_load_dwordx2 v[8:9], v[8:9], off offset:748
	s_nop 0
	global_load_dwordx2 v[10:11], v[10:11], off offset:748
	ds_read2_b32 v[12:13], v16 offset1:99
	ds_read2_b32 v[14:15], v7 offset0:70 offset1:169
	ds_read2_b32 v[18:19], v17 offset0:140 offset1:239
	s_waitcnt lgkmcnt(0)
	s_barrier
	v_lshrrev_b32_e32 v0, 16, v13
	v_lshrrev_b32_e32 v20, 16, v14
	;; [unrolled: 1-line block ×6, first 2 shown]
	s_waitcnt vmcnt(1)
	v_mul_f16_sdwa v25, v8, v20 dst_sel:DWORD dst_unused:UNUSED_PAD src0_sel:WORD_1 src1_sel:DWORD
	v_mul_f16_sdwa v26, v8, v14 dst_sel:DWORD dst_unused:UNUSED_PAD src0_sel:WORD_1 src1_sel:DWORD
	;; [unrolled: 1-line block ×4, first 2 shown]
	s_waitcnt vmcnt(0)
	v_mul_f16_sdwa v29, v10, v22 dst_sel:DWORD dst_unused:UNUSED_PAD src0_sel:WORD_1 src1_sel:DWORD
	v_mul_f16_sdwa v30, v10, v15 dst_sel:DWORD dst_unused:UNUSED_PAD src0_sel:WORD_1 src1_sel:DWORD
	;; [unrolled: 1-line block ×4, first 2 shown]
	v_fma_f16 v14, v8, v14, -v25
	v_fma_f16 v8, v8, v20, v26
	v_fma_f16 v18, v9, v18, -v27
	v_fma_f16 v9, v9, v21, v28
	;; [unrolled: 2-line block ×4, first 2 shown]
	v_add_f16_e32 v20, v14, v12
	v_add_f16_e32 v21, v14, v18
	v_sub_f16_e32 v22, v8, v9
	v_add_f16_e32 v23, v8, v24
	v_add_f16_e32 v8, v8, v9
	;; [unrolled: 1-line block ×4, first 2 shown]
	v_sub_f16_e32 v27, v10, v11
	v_add_f16_e32 v28, v0, v10
	v_add_f16_e32 v10, v10, v11
	v_sub_f16_e32 v14, v14, v18
	v_sub_f16_e32 v15, v15, v19
	v_add_f16_e32 v18, v20, v18
	v_fma_f16 v12, v21, -0.5, v12
	v_add_f16_e32 v9, v23, v9
	v_fma_f16 v8, v8, -0.5, v24
	;; [unrolled: 2-line block ×4, first 2 shown]
	v_fma_f16 v10, v22, s0, v12
	v_fma_f16 v12, v22, s1, v12
	;; [unrolled: 1-line block ×8, first 2 shown]
	v_pack_b32_f16 v9, v18, v9
	v_pack_b32_f16 v11, v19, v11
	;; [unrolled: 1-line block ×4, first 2 shown]
	ds_write2_b32 v16, v9, v11 offset1:99
	v_pack_b32_f16 v9, v14, v21
	v_pack_b32_f16 v0, v13, v0
	ds_write2_b32 v7, v10, v9 offset0:70 offset1:169
	ds_write2_b32 v17, v8, v0 offset0:140 offset1:239
	s_waitcnt lgkmcnt(0)
	s_barrier
	s_and_saveexec_b64 s[0:1], vcc
	s_cbranch_execz .LBB0_23
; %bb.22:
	v_lshl_add_u32 v12, v6, 2, 0
	v_mul_lo_u32 v0, s3, v4
	v_mul_lo_u32 v7, s2, v5
	v_mad_u64_u32 v[4:5], s[0:1], s2, v4, 0
	ds_read2_b32 v[8:9], v12 offset1:99
	v_add3_u32 v5, v5, v7, v0
	v_lshl_add_u64 v[4:5], v[4:5], 2, s[6:7]
	v_mov_b32_e32 v7, v1
	v_lshl_add_u64 v[2:3], v[2:3], 2, v[4:5]
	v_lshl_add_u64 v[4:5], v[6:7], 2, v[2:3]
	s_waitcnt lgkmcnt(0)
	global_store_dword v[4:5], v8, off
	v_add_u32_e32 v4, 0x200, v12
	ds_read2_b32 v[4:5], v4 offset0:70 offset1:169
	v_add_u32_e32 v0, 0x63, v6
	v_lshl_add_u64 v[10:11], v[0:1], 2, v[2:3]
	v_add_u32_e32 v0, 0xc6, v6
	global_store_dword v[10:11], v9, off
	v_lshl_add_u64 v[8:9], v[0:1], 2, v[2:3]
	s_waitcnt lgkmcnt(0)
	global_store_dword v[8:9], v4, off
	v_add_u32_e32 v4, 0x400, v12
	ds_read2_b32 v[8:9], v4 offset0:140 offset1:239
	v_add_u32_e32 v0, 0x129, v6
	v_lshl_add_u64 v[10:11], v[0:1], 2, v[2:3]
	v_add_u32_e32 v0, 0x18c, v6
	global_store_dword v[10:11], v5, off
	v_lshl_add_u64 v[4:5], v[0:1], 2, v[2:3]
	v_add_u32_e32 v0, 0x1ef, v6
	v_lshl_add_u64 v[0:1], v[0:1], 2, v[2:3]
	s_waitcnt lgkmcnt(0)
	global_store_dword v[4:5], v8, off
	global_store_dword v[0:1], v9, off
.LBB0_23:
	s_endpgm
	.section	.rodata,"a",@progbits
	.p2align	6, 0x0
	.amdhsa_kernel fft_rtc_fwd_len594_factors_11_3_6_3_wgs_99_tpt_99_half_op_CI_CI_unitstride_sbrr_C2R_dirReg
		.amdhsa_group_segment_fixed_size 0
		.amdhsa_private_segment_fixed_size 0
		.amdhsa_kernarg_size 104
		.amdhsa_user_sgpr_count 2
		.amdhsa_user_sgpr_dispatch_ptr 0
		.amdhsa_user_sgpr_queue_ptr 0
		.amdhsa_user_sgpr_kernarg_segment_ptr 1
		.amdhsa_user_sgpr_dispatch_id 0
		.amdhsa_user_sgpr_kernarg_preload_length 0
		.amdhsa_user_sgpr_kernarg_preload_offset 0
		.amdhsa_user_sgpr_private_segment_size 0
		.amdhsa_uses_dynamic_stack 0
		.amdhsa_enable_private_segment 0
		.amdhsa_system_sgpr_workgroup_id_x 1
		.amdhsa_system_sgpr_workgroup_id_y 0
		.amdhsa_system_sgpr_workgroup_id_z 0
		.amdhsa_system_sgpr_workgroup_info 0
		.amdhsa_system_vgpr_workitem_id 0
		.amdhsa_next_free_vgpr 83
		.amdhsa_next_free_sgpr 28
		.amdhsa_accum_offset 84
		.amdhsa_reserve_vcc 1
		.amdhsa_float_round_mode_32 0
		.amdhsa_float_round_mode_16_64 0
		.amdhsa_float_denorm_mode_32 3
		.amdhsa_float_denorm_mode_16_64 3
		.amdhsa_dx10_clamp 1
		.amdhsa_ieee_mode 1
		.amdhsa_fp16_overflow 0
		.amdhsa_tg_split 0
		.amdhsa_exception_fp_ieee_invalid_op 0
		.amdhsa_exception_fp_denorm_src 0
		.amdhsa_exception_fp_ieee_div_zero 0
		.amdhsa_exception_fp_ieee_overflow 0
		.amdhsa_exception_fp_ieee_underflow 0
		.amdhsa_exception_fp_ieee_inexact 0
		.amdhsa_exception_int_div_zero 0
	.end_amdhsa_kernel
	.text
.Lfunc_end0:
	.size	fft_rtc_fwd_len594_factors_11_3_6_3_wgs_99_tpt_99_half_op_CI_CI_unitstride_sbrr_C2R_dirReg, .Lfunc_end0-fft_rtc_fwd_len594_factors_11_3_6_3_wgs_99_tpt_99_half_op_CI_CI_unitstride_sbrr_C2R_dirReg
                                        ; -- End function
	.section	.AMDGPU.csdata,"",@progbits
; Kernel info:
; codeLenInByte = 6356
; NumSgprs: 34
; NumVgprs: 83
; NumAgprs: 0
; TotalNumVgprs: 83
; ScratchSize: 0
; MemoryBound: 0
; FloatMode: 240
; IeeeMode: 1
; LDSByteSize: 0 bytes/workgroup (compile time only)
; SGPRBlocks: 4
; VGPRBlocks: 10
; NumSGPRsForWavesPerEU: 34
; NumVGPRsForWavesPerEU: 83
; AccumOffset: 84
; Occupancy: 5
; WaveLimiterHint : 1
; COMPUTE_PGM_RSRC2:SCRATCH_EN: 0
; COMPUTE_PGM_RSRC2:USER_SGPR: 2
; COMPUTE_PGM_RSRC2:TRAP_HANDLER: 0
; COMPUTE_PGM_RSRC2:TGID_X_EN: 1
; COMPUTE_PGM_RSRC2:TGID_Y_EN: 0
; COMPUTE_PGM_RSRC2:TGID_Z_EN: 0
; COMPUTE_PGM_RSRC2:TIDIG_COMP_CNT: 0
; COMPUTE_PGM_RSRC3_GFX90A:ACCUM_OFFSET: 20
; COMPUTE_PGM_RSRC3_GFX90A:TG_SPLIT: 0
	.text
	.p2alignl 6, 3212836864
	.fill 256, 4, 3212836864
	.type	__hip_cuid_e1ab3a3c2d1e25e5,@object ; @__hip_cuid_e1ab3a3c2d1e25e5
	.section	.bss,"aw",@nobits
	.globl	__hip_cuid_e1ab3a3c2d1e25e5
__hip_cuid_e1ab3a3c2d1e25e5:
	.byte	0                               ; 0x0
	.size	__hip_cuid_e1ab3a3c2d1e25e5, 1

	.ident	"AMD clang version 19.0.0git (https://github.com/RadeonOpenCompute/llvm-project roc-6.4.0 25133 c7fe45cf4b819c5991fe208aaa96edf142730f1d)"
	.section	".note.GNU-stack","",@progbits
	.addrsig
	.addrsig_sym __hip_cuid_e1ab3a3c2d1e25e5
	.amdgpu_metadata
---
amdhsa.kernels:
  - .agpr_count:     0
    .args:
      - .actual_access:  read_only
        .address_space:  global
        .offset:         0
        .size:           8
        .value_kind:     global_buffer
      - .offset:         8
        .size:           8
        .value_kind:     by_value
      - .actual_access:  read_only
        .address_space:  global
        .offset:         16
        .size:           8
        .value_kind:     global_buffer
      - .actual_access:  read_only
        .address_space:  global
        .offset:         24
        .size:           8
        .value_kind:     global_buffer
      - .actual_access:  read_only
        .address_space:  global
        .offset:         32
        .size:           8
        .value_kind:     global_buffer
      - .offset:         40
        .size:           8
        .value_kind:     by_value
      - .actual_access:  read_only
        .address_space:  global
        .offset:         48
        .size:           8
        .value_kind:     global_buffer
      - .actual_access:  read_only
        .address_space:  global
        .offset:         56
        .size:           8
        .value_kind:     global_buffer
      - .offset:         64
        .size:           4
        .value_kind:     by_value
      - .actual_access:  read_only
        .address_space:  global
        .offset:         72
        .size:           8
        .value_kind:     global_buffer
      - .actual_access:  read_only
        .address_space:  global
        .offset:         80
        .size:           8
        .value_kind:     global_buffer
      - .actual_access:  read_only
        .address_space:  global
        .offset:         88
        .size:           8
        .value_kind:     global_buffer
      - .actual_access:  write_only
        .address_space:  global
        .offset:         96
        .size:           8
        .value_kind:     global_buffer
    .group_segment_fixed_size: 0
    .kernarg_segment_align: 8
    .kernarg_segment_size: 104
    .language:       OpenCL C
    .language_version:
      - 2
      - 0
    .max_flat_workgroup_size: 99
    .name:           fft_rtc_fwd_len594_factors_11_3_6_3_wgs_99_tpt_99_half_op_CI_CI_unitstride_sbrr_C2R_dirReg
    .private_segment_fixed_size: 0
    .sgpr_count:     34
    .sgpr_spill_count: 0
    .symbol:         fft_rtc_fwd_len594_factors_11_3_6_3_wgs_99_tpt_99_half_op_CI_CI_unitstride_sbrr_C2R_dirReg.kd
    .uniform_work_group_size: 1
    .uses_dynamic_stack: false
    .vgpr_count:     83
    .vgpr_spill_count: 0
    .wavefront_size: 64
amdhsa.target:   amdgcn-amd-amdhsa--gfx950
amdhsa.version:
  - 1
  - 2
...

	.end_amdgpu_metadata
